;; amdgpu-corpus repo=ROCm/rocFFT kind=compiled arch=gfx1100 opt=O3
	.text
	.amdgcn_target "amdgcn-amd-amdhsa--gfx1100"
	.amdhsa_code_object_version 6
	.protected	fft_rtc_fwd_len1300_factors_10_10_13_wgs_130_tpt_130_dp_op_CI_CI_unitstride_sbrr_dirReg ; -- Begin function fft_rtc_fwd_len1300_factors_10_10_13_wgs_130_tpt_130_dp_op_CI_CI_unitstride_sbrr_dirReg
	.globl	fft_rtc_fwd_len1300_factors_10_10_13_wgs_130_tpt_130_dp_op_CI_CI_unitstride_sbrr_dirReg
	.p2align	8
	.type	fft_rtc_fwd_len1300_factors_10_10_13_wgs_130_tpt_130_dp_op_CI_CI_unitstride_sbrr_dirReg,@function
fft_rtc_fwd_len1300_factors_10_10_13_wgs_130_tpt_130_dp_op_CI_CI_unitstride_sbrr_dirReg: ; @fft_rtc_fwd_len1300_factors_10_10_13_wgs_130_tpt_130_dp_op_CI_CI_unitstride_sbrr_dirReg
; %bb.0:
	s_clause 0x2
	s_load_b128 s[8:11], s[0:1], 0x0
	s_load_b128 s[4:7], s[0:1], 0x58
	;; [unrolled: 1-line block ×3, first 2 shown]
	v_mul_u32_u24_e32 v1, 0x1f9, v0
	v_mov_b32_e32 v4, 0
	v_mov_b32_e32 v5, 0
	s_delay_alu instid0(VALU_DEP_3) | instskip(NEXT) | instid1(VALU_DEP_1)
	v_lshrrev_b32_e32 v2, 16, v1
	v_dual_mov_b32 v1, 0 :: v_dual_add_nc_u32 v6, s15, v2
	s_delay_alu instid0(VALU_DEP_1) | instskip(SKIP_2) | instid1(VALU_DEP_1)
	v_mov_b32_e32 v7, v1
	s_waitcnt lgkmcnt(0)
	v_cmp_lt_u64_e64 s2, s[10:11], 2
	s_and_b32 vcc_lo, exec_lo, s2
	s_cbranch_vccnz .LBB0_8
; %bb.1:
	s_load_b64 s[2:3], s[0:1], 0x10
	v_mov_b32_e32 v4, 0
	v_mov_b32_e32 v5, 0
	s_add_u32 s12, s18, 8
	s_addc_u32 s13, s19, 0
	s_add_u32 s14, s16, 8
	s_addc_u32 s15, s17, 0
	v_dual_mov_b32 v53, v5 :: v_dual_mov_b32 v52, v4
	s_mov_b64 s[22:23], 1
	s_waitcnt lgkmcnt(0)
	s_add_u32 s20, s2, 8
	s_addc_u32 s21, s3, 0
.LBB0_2:                                ; =>This Inner Loop Header: Depth=1
	s_load_b64 s[24:25], s[20:21], 0x0
                                        ; implicit-def: $vgpr54_vgpr55
	s_mov_b32 s2, exec_lo
	s_waitcnt lgkmcnt(0)
	v_or_b32_e32 v2, s25, v7
	s_delay_alu instid0(VALU_DEP_1)
	v_cmpx_ne_u64_e32 0, v[1:2]
	s_xor_b32 s3, exec_lo, s2
	s_cbranch_execz .LBB0_4
; %bb.3:                                ;   in Loop: Header=BB0_2 Depth=1
	v_cvt_f32_u32_e32 v2, s24
	v_cvt_f32_u32_e32 v3, s25
	s_sub_u32 s2, 0, s24
	s_subb_u32 s26, 0, s25
	s_delay_alu instid0(VALU_DEP_1) | instskip(NEXT) | instid1(VALU_DEP_1)
	v_fmac_f32_e32 v2, 0x4f800000, v3
	v_rcp_f32_e32 v2, v2
	s_waitcnt_depctr 0xfff
	v_mul_f32_e32 v2, 0x5f7ffffc, v2
	s_delay_alu instid0(VALU_DEP_1) | instskip(NEXT) | instid1(VALU_DEP_1)
	v_mul_f32_e32 v3, 0x2f800000, v2
	v_trunc_f32_e32 v3, v3
	s_delay_alu instid0(VALU_DEP_1) | instskip(SKIP_1) | instid1(VALU_DEP_2)
	v_fmac_f32_e32 v2, 0xcf800000, v3
	v_cvt_u32_f32_e32 v3, v3
	v_cvt_u32_f32_e32 v2, v2
	s_delay_alu instid0(VALU_DEP_2) | instskip(NEXT) | instid1(VALU_DEP_2)
	v_mul_lo_u32 v8, s2, v3
	v_mul_hi_u32 v9, s2, v2
	v_mul_lo_u32 v10, s26, v2
	s_delay_alu instid0(VALU_DEP_2) | instskip(SKIP_1) | instid1(VALU_DEP_2)
	v_add_nc_u32_e32 v8, v9, v8
	v_mul_lo_u32 v9, s2, v2
	v_add_nc_u32_e32 v8, v8, v10
	s_delay_alu instid0(VALU_DEP_2) | instskip(NEXT) | instid1(VALU_DEP_2)
	v_mul_hi_u32 v10, v2, v9
	v_mul_lo_u32 v11, v2, v8
	v_mul_hi_u32 v12, v2, v8
	v_mul_hi_u32 v13, v3, v9
	v_mul_lo_u32 v9, v3, v9
	v_mul_hi_u32 v14, v3, v8
	v_mul_lo_u32 v8, v3, v8
	v_add_co_u32 v10, vcc_lo, v10, v11
	v_add_co_ci_u32_e32 v11, vcc_lo, 0, v12, vcc_lo
	s_delay_alu instid0(VALU_DEP_2) | instskip(NEXT) | instid1(VALU_DEP_2)
	v_add_co_u32 v9, vcc_lo, v10, v9
	v_add_co_ci_u32_e32 v9, vcc_lo, v11, v13, vcc_lo
	v_add_co_ci_u32_e32 v10, vcc_lo, 0, v14, vcc_lo
	s_delay_alu instid0(VALU_DEP_2) | instskip(NEXT) | instid1(VALU_DEP_2)
	v_add_co_u32 v8, vcc_lo, v9, v8
	v_add_co_ci_u32_e32 v9, vcc_lo, 0, v10, vcc_lo
	s_delay_alu instid0(VALU_DEP_2) | instskip(NEXT) | instid1(VALU_DEP_2)
	v_add_co_u32 v2, vcc_lo, v2, v8
	v_add_co_ci_u32_e32 v3, vcc_lo, v3, v9, vcc_lo
	s_delay_alu instid0(VALU_DEP_2) | instskip(SKIP_1) | instid1(VALU_DEP_3)
	v_mul_hi_u32 v8, s2, v2
	v_mul_lo_u32 v10, s26, v2
	v_mul_lo_u32 v9, s2, v3
	s_delay_alu instid0(VALU_DEP_1) | instskip(SKIP_1) | instid1(VALU_DEP_2)
	v_add_nc_u32_e32 v8, v8, v9
	v_mul_lo_u32 v9, s2, v2
	v_add_nc_u32_e32 v8, v8, v10
	s_delay_alu instid0(VALU_DEP_2) | instskip(NEXT) | instid1(VALU_DEP_2)
	v_mul_hi_u32 v10, v2, v9
	v_mul_lo_u32 v11, v2, v8
	v_mul_hi_u32 v12, v2, v8
	v_mul_hi_u32 v13, v3, v9
	v_mul_lo_u32 v9, v3, v9
	v_mul_hi_u32 v14, v3, v8
	v_mul_lo_u32 v8, v3, v8
	v_add_co_u32 v10, vcc_lo, v10, v11
	v_add_co_ci_u32_e32 v11, vcc_lo, 0, v12, vcc_lo
	s_delay_alu instid0(VALU_DEP_2) | instskip(NEXT) | instid1(VALU_DEP_2)
	v_add_co_u32 v9, vcc_lo, v10, v9
	v_add_co_ci_u32_e32 v9, vcc_lo, v11, v13, vcc_lo
	v_add_co_ci_u32_e32 v10, vcc_lo, 0, v14, vcc_lo
	s_delay_alu instid0(VALU_DEP_2) | instskip(NEXT) | instid1(VALU_DEP_2)
	v_add_co_u32 v8, vcc_lo, v9, v8
	v_add_co_ci_u32_e32 v9, vcc_lo, 0, v10, vcc_lo
	s_delay_alu instid0(VALU_DEP_2) | instskip(NEXT) | instid1(VALU_DEP_2)
	v_add_co_u32 v10, vcc_lo, v2, v8
	v_add_co_ci_u32_e32 v12, vcc_lo, v3, v9, vcc_lo
	s_delay_alu instid0(VALU_DEP_2) | instskip(SKIP_1) | instid1(VALU_DEP_3)
	v_mul_hi_u32 v13, v6, v10
	v_mad_u64_u32 v[8:9], null, v7, v10, 0
	v_mad_u64_u32 v[2:3], null, v6, v12, 0
	;; [unrolled: 1-line block ×3, first 2 shown]
	s_delay_alu instid0(VALU_DEP_2) | instskip(NEXT) | instid1(VALU_DEP_3)
	v_add_co_u32 v2, vcc_lo, v13, v2
	v_add_co_ci_u32_e32 v3, vcc_lo, 0, v3, vcc_lo
	s_delay_alu instid0(VALU_DEP_2) | instskip(NEXT) | instid1(VALU_DEP_2)
	v_add_co_u32 v2, vcc_lo, v2, v8
	v_add_co_ci_u32_e32 v2, vcc_lo, v3, v9, vcc_lo
	v_add_co_ci_u32_e32 v3, vcc_lo, 0, v11, vcc_lo
	s_delay_alu instid0(VALU_DEP_2) | instskip(NEXT) | instid1(VALU_DEP_2)
	v_add_co_u32 v8, vcc_lo, v2, v10
	v_add_co_ci_u32_e32 v9, vcc_lo, 0, v3, vcc_lo
	s_delay_alu instid0(VALU_DEP_2) | instskip(SKIP_1) | instid1(VALU_DEP_3)
	v_mul_lo_u32 v10, s25, v8
	v_mad_u64_u32 v[2:3], null, s24, v8, 0
	v_mul_lo_u32 v11, s24, v9
	s_delay_alu instid0(VALU_DEP_2) | instskip(NEXT) | instid1(VALU_DEP_2)
	v_sub_co_u32 v2, vcc_lo, v6, v2
	v_add3_u32 v3, v3, v11, v10
	s_delay_alu instid0(VALU_DEP_1) | instskip(NEXT) | instid1(VALU_DEP_1)
	v_sub_nc_u32_e32 v10, v7, v3
	v_subrev_co_ci_u32_e64 v10, s2, s25, v10, vcc_lo
	v_add_co_u32 v11, s2, v8, 2
	s_delay_alu instid0(VALU_DEP_1) | instskip(SKIP_3) | instid1(VALU_DEP_3)
	v_add_co_ci_u32_e64 v12, s2, 0, v9, s2
	v_sub_co_u32 v13, s2, v2, s24
	v_sub_co_ci_u32_e32 v3, vcc_lo, v7, v3, vcc_lo
	v_subrev_co_ci_u32_e64 v10, s2, 0, v10, s2
	v_cmp_le_u32_e32 vcc_lo, s24, v13
	s_delay_alu instid0(VALU_DEP_3) | instskip(SKIP_1) | instid1(VALU_DEP_4)
	v_cmp_eq_u32_e64 s2, s25, v3
	v_cndmask_b32_e64 v13, 0, -1, vcc_lo
	v_cmp_le_u32_e32 vcc_lo, s25, v10
	v_cndmask_b32_e64 v14, 0, -1, vcc_lo
	v_cmp_le_u32_e32 vcc_lo, s24, v2
	;; [unrolled: 2-line block ×3, first 2 shown]
	v_cndmask_b32_e64 v15, 0, -1, vcc_lo
	v_cmp_eq_u32_e32 vcc_lo, s25, v10
	s_delay_alu instid0(VALU_DEP_2) | instskip(SKIP_3) | instid1(VALU_DEP_3)
	v_cndmask_b32_e64 v2, v15, v2, s2
	v_cndmask_b32_e32 v10, v14, v13, vcc_lo
	v_add_co_u32 v13, vcc_lo, v8, 1
	v_add_co_ci_u32_e32 v14, vcc_lo, 0, v9, vcc_lo
	v_cmp_ne_u32_e32 vcc_lo, 0, v10
	s_delay_alu instid0(VALU_DEP_2) | instskip(SKIP_1) | instid1(VALU_DEP_2)
	v_dual_cndmask_b32 v3, v14, v12 :: v_dual_cndmask_b32 v10, v13, v11
	v_cmp_ne_u32_e32 vcc_lo, 0, v2
	v_dual_cndmask_b32 v55, v9, v3 :: v_dual_cndmask_b32 v54, v8, v10
.LBB0_4:                                ;   in Loop: Header=BB0_2 Depth=1
	s_and_not1_saveexec_b32 s2, s3
	s_cbranch_execz .LBB0_6
; %bb.5:                                ;   in Loop: Header=BB0_2 Depth=1
	v_cvt_f32_u32_e32 v2, s24
	s_sub_i32 s3, 0, s24
	v_mov_b32_e32 v55, v1
	s_delay_alu instid0(VALU_DEP_2) | instskip(SKIP_2) | instid1(VALU_DEP_1)
	v_rcp_iflag_f32_e32 v2, v2
	s_waitcnt_depctr 0xfff
	v_mul_f32_e32 v2, 0x4f7ffffe, v2
	v_cvt_u32_f32_e32 v2, v2
	s_delay_alu instid0(VALU_DEP_1) | instskip(NEXT) | instid1(VALU_DEP_1)
	v_mul_lo_u32 v3, s3, v2
	v_mul_hi_u32 v3, v2, v3
	s_delay_alu instid0(VALU_DEP_1) | instskip(NEXT) | instid1(VALU_DEP_1)
	v_add_nc_u32_e32 v2, v2, v3
	v_mul_hi_u32 v2, v6, v2
	s_delay_alu instid0(VALU_DEP_1) | instskip(SKIP_1) | instid1(VALU_DEP_2)
	v_mul_lo_u32 v3, v2, s24
	v_add_nc_u32_e32 v8, 1, v2
	v_sub_nc_u32_e32 v3, v6, v3
	s_delay_alu instid0(VALU_DEP_1) | instskip(SKIP_1) | instid1(VALU_DEP_2)
	v_subrev_nc_u32_e32 v9, s24, v3
	v_cmp_le_u32_e32 vcc_lo, s24, v3
	v_dual_cndmask_b32 v3, v3, v9 :: v_dual_cndmask_b32 v2, v2, v8
	s_delay_alu instid0(VALU_DEP_1) | instskip(NEXT) | instid1(VALU_DEP_2)
	v_cmp_le_u32_e32 vcc_lo, s24, v3
	v_add_nc_u32_e32 v8, 1, v2
	s_delay_alu instid0(VALU_DEP_1)
	v_cndmask_b32_e32 v54, v2, v8, vcc_lo
.LBB0_6:                                ;   in Loop: Header=BB0_2 Depth=1
	s_or_b32 exec_lo, exec_lo, s2
	s_delay_alu instid0(VALU_DEP_1) | instskip(NEXT) | instid1(VALU_DEP_2)
	v_mul_lo_u32 v8, v55, s24
	v_mul_lo_u32 v9, v54, s25
	s_load_b64 s[2:3], s[14:15], 0x0
	v_mad_u64_u32 v[2:3], null, v54, s24, 0
	s_load_b64 s[24:25], s[12:13], 0x0
	s_add_u32 s22, s22, 1
	s_addc_u32 s23, s23, 0
	s_add_u32 s12, s12, 8
	s_addc_u32 s13, s13, 0
	s_add_u32 s14, s14, 8
	s_delay_alu instid0(VALU_DEP_1) | instskip(SKIP_3) | instid1(VALU_DEP_2)
	v_add3_u32 v3, v3, v9, v8
	v_sub_co_u32 v8, vcc_lo, v6, v2
	s_addc_u32 s15, s15, 0
	s_add_u32 s20, s20, 8
	v_sub_co_ci_u32_e32 v6, vcc_lo, v7, v3, vcc_lo
	s_addc_u32 s21, s21, 0
	s_waitcnt lgkmcnt(0)
	s_delay_alu instid0(VALU_DEP_1)
	v_mul_lo_u32 v9, s2, v6
	v_mul_lo_u32 v10, s3, v8
	v_mad_u64_u32 v[2:3], null, s2, v8, v[4:5]
	v_mul_lo_u32 v11, s24, v6
	v_mul_lo_u32 v12, s25, v8
	v_mad_u64_u32 v[6:7], null, s24, v8, v[52:53]
	v_cmp_ge_u64_e64 s2, s[22:23], s[10:11]
	v_add3_u32 v5, v10, v3, v9
	v_mov_b32_e32 v4, v2
	s_delay_alu instid0(VALU_DEP_4)
	v_add3_u32 v53, v12, v7, v11
	v_mov_b32_e32 v52, v6
	s_and_b32 vcc_lo, exec_lo, s2
	s_cbranch_vccnz .LBB0_9
; %bb.7:                                ;   in Loop: Header=BB0_2 Depth=1
	v_dual_mov_b32 v6, v54 :: v_dual_mov_b32 v7, v55
	s_branch .LBB0_2
.LBB0_8:
	v_dual_mov_b32 v53, v5 :: v_dual_mov_b32 v52, v4
	v_dual_mov_b32 v55, v7 :: v_dual_mov_b32 v54, v6
.LBB0_9:
	s_load_b64 s[0:1], s[0:1], 0x28
	v_mul_hi_u32 v1, 0x1f81f82, v0
	s_lshl_b64 s[10:11], s[10:11], 3
                                        ; implicit-def: $vgpr56
	s_delay_alu instid0(SALU_CYCLE_1) | instskip(SKIP_4) | instid1(VALU_DEP_1)
	s_add_u32 s2, s18, s10
	s_addc_u32 s3, s19, s11
	s_waitcnt lgkmcnt(0)
	v_cmp_gt_u64_e32 vcc_lo, s[0:1], v[54:55]
	v_cmp_le_u64_e64 s0, s[0:1], v[54:55]
	s_and_saveexec_b32 s1, s0
	s_delay_alu instid0(SALU_CYCLE_1)
	s_xor_b32 s0, exec_lo, s1
; %bb.10:
	v_mul_u32_u24_e32 v1, 0x82, v1
                                        ; implicit-def: $vgpr4_vgpr5
	s_delay_alu instid0(VALU_DEP_1)
	v_sub_nc_u32_e32 v56, v0, v1
                                        ; implicit-def: $vgpr1
                                        ; implicit-def: $vgpr0
; %bb.11:
	s_or_saveexec_b32 s1, s0
                                        ; implicit-def: $vgpr6_vgpr7
                                        ; implicit-def: $vgpr2_vgpr3
                                        ; implicit-def: $vgpr18_vgpr19
                                        ; implicit-def: $vgpr22_vgpr23
                                        ; implicit-def: $vgpr26_vgpr27
                                        ; implicit-def: $vgpr30_vgpr31
                                        ; implicit-def: $vgpr38_vgpr39
                                        ; implicit-def: $vgpr34_vgpr35
                                        ; implicit-def: $vgpr14_vgpr15
                                        ; implicit-def: $vgpr10_vgpr11
	s_delay_alu instid0(SALU_CYCLE_1)
	s_xor_b32 exec_lo, exec_lo, s1
	s_cbranch_execz .LBB0_13
; %bb.12:
	s_add_u32 s10, s16, s10
	s_addc_u32 s11, s17, s11
	s_load_b64 s[10:11], s[10:11], 0x0
	s_waitcnt lgkmcnt(0)
	v_mul_lo_u32 v6, s11, v54
	v_mul_lo_u32 v7, s10, v55
	v_mad_u64_u32 v[2:3], null, s10, v54, 0
	s_delay_alu instid0(VALU_DEP_1) | instskip(SKIP_1) | instid1(VALU_DEP_2)
	v_add3_u32 v3, v3, v7, v6
	v_mul_u32_u24_e32 v6, 0x82, v1
	v_lshlrev_b64 v[1:2], 4, v[2:3]
	v_lshlrev_b64 v[3:4], 4, v[4:5]
	s_delay_alu instid0(VALU_DEP_3) | instskip(NEXT) | instid1(VALU_DEP_3)
	v_sub_nc_u32_e32 v56, v0, v6
	v_add_co_u32 v0, s0, s4, v1
	s_delay_alu instid0(VALU_DEP_1) | instskip(NEXT) | instid1(VALU_DEP_3)
	v_add_co_ci_u32_e64 v1, s0, s5, v2, s0
	v_lshlrev_b32_e32 v2, 4, v56
	s_delay_alu instid0(VALU_DEP_3) | instskip(NEXT) | instid1(VALU_DEP_1)
	v_add_co_u32 v0, s0, v0, v3
	v_add_co_ci_u32_e64 v1, s0, v1, v4, s0
	s_delay_alu instid0(VALU_DEP_2) | instskip(NEXT) | instid1(VALU_DEP_1)
	v_add_co_u32 v0, s0, v0, v2
	v_add_co_ci_u32_e64 v1, s0, 0, v1, s0
	s_clause 0x1
	global_load_b128 v[8:11], v[0:1], off
	global_load_b128 v[12:15], v[0:1], off offset:2080
	v_add_co_u32 v2, s0, 0x1000, v0
	s_delay_alu instid0(VALU_DEP_1) | instskip(SKIP_1) | instid1(VALU_DEP_1)
	v_add_co_ci_u32_e64 v3, s0, 0, v1, s0
	v_add_co_u32 v4, s0, 0x2000, v0
	v_add_co_ci_u32_e64 v5, s0, 0, v1, s0
	v_add_co_u32 v6, s0, 0x3000, v0
	s_delay_alu instid0(VALU_DEP_1) | instskip(SKIP_1) | instid1(VALU_DEP_1)
	v_add_co_ci_u32_e64 v7, s0, 0, v1, s0
	v_add_co_u32 v40, s0, 0x4000, v0
	v_add_co_ci_u32_e64 v41, s0, 0, v1, s0
	s_clause 0x7
	global_load_b128 v[32:35], v[2:3], off offset:64
	global_load_b128 v[36:39], v[2:3], off offset:2144
	;; [unrolled: 1-line block ×8, first 2 shown]
.LBB0_13:
	s_or_b32 exec_lo, exec_lo, s1
	s_waitcnt vmcnt(2)
	v_add_f64 v[40:41], v[16:17], v[24:25]
	s_waitcnt vmcnt(0)
	v_add_f64 v[42:43], v[4:5], v[36:37]
	v_add_f64 v[44:45], v[6:7], v[38:39]
	v_add_f64 v[46:47], v[18:19], v[26:27]
	v_add_f64 v[48:49], v[38:39], -v[6:7]
	v_add_f64 v[50:51], v[26:27], -v[18:19]
	;; [unrolled: 1-line block ×4, first 2 shown]
	s_mov_b32 s4, 0x134454ff
	s_mov_b32 s5, 0x3fee6f0e
	;; [unrolled: 1-line block ×4, first 2 shown]
	v_add_f64 v[61:62], v[20:21], v[28:29]
	v_add_f64 v[63:64], v[0:1], v[32:33]
	;; [unrolled: 1-line block ×3, first 2 shown]
	v_add_f64 v[69:70], v[36:37], -v[24:25]
	v_add_f64 v[71:72], v[4:5], -v[16:17]
	v_add_f64 v[67:68], v[2:3], v[34:35]
	v_add_f64 v[73:74], v[24:25], -v[36:37]
	v_add_f64 v[75:76], v[16:17], -v[4:5]
	;; [unrolled: 1-line block ×6, first 2 shown]
	s_mov_b32 s10, 0x4755a5e
	s_mov_b32 s11, 0x3fe2cf23
	v_add_f64 v[93:94], v[34:35], v[10:11]
	s_mov_b32 s13, 0xbfe2cf23
	s_mov_b32 s12, s10
	v_add_f64 v[95:96], v[30:31], -v[22:23]
	v_add_f64 v[97:98], v[32:33], -v[0:1]
	;; [unrolled: 1-line block ×3, first 2 shown]
	s_mov_b32 s14, 0x372fe950
	s_mov_b32 s15, 0x3fd3c6ef
	;; [unrolled: 1-line block ×4, first 2 shown]
	s_load_b64 s[2:3], s[2:3], 0x0
	v_fma_f64 v[40:41], v[40:41], -0.5, v[12:13]
	v_fma_f64 v[42:43], v[42:43], -0.5, v[12:13]
	;; [unrolled: 1-line block ×4, first 2 shown]
	v_add_f64 v[12:13], v[36:37], v[12:13]
	v_add_f64 v[14:15], v[38:39], v[14:15]
	;; [unrolled: 1-line block ×3, first 2 shown]
	v_add_f64 v[38:39], v[34:35], -v[2:3]
	v_fma_f64 v[61:62], v[61:62], -0.5, v[8:9]
	v_fma_f64 v[8:9], v[63:64], -0.5, v[8:9]
	;; [unrolled: 1-line block ×3, first 2 shown]
	v_add_f64 v[65:66], v[71:72], v[69:70]
	v_fma_f64 v[10:11], v[67:68], -0.5, v[10:11]
	v_add_f64 v[67:68], v[75:76], v[73:74]
	v_fma_f64 v[81:82], v[48:49], s[4:5], v[40:41]
	v_fma_f64 v[83:84], v[50:51], s[0:1], v[42:43]
	;; [unrolled: 1-line block ×8, first 2 shown]
	v_add_f64 v[12:13], v[24:25], v[12:13]
	v_add_f64 v[14:15], v[26:27], v[14:15]
	v_fma_f64 v[24:25], v[38:39], s[4:5], v[61:62]
	v_fma_f64 v[26:27], v[38:39], s[0:1], v[61:62]
	;; [unrolled: 1-line block ×8, first 2 shown]
	v_add_f64 v[50:51], v[87:88], v[85:86]
	v_fma_f64 v[73:74], v[57:58], s[10:11], v[89:90]
	v_add_f64 v[48:49], v[79:80], v[77:78]
	v_fma_f64 v[75:76], v[59:60], s[10:11], v[91:92]
	v_add_f64 v[77:78], v[32:33], -v[28:29]
	v_add_f64 v[32:33], v[28:29], -v[32:33]
	v_add_f64 v[83:84], v[34:35], -v[30:31]
	v_add_f64 v[34:35], v[30:31], -v[34:35]
	v_add_f64 v[28:29], v[28:29], v[36:37]
	v_add_f64 v[30:31], v[30:31], v[93:94]
	v_add_f64 v[79:80], v[0:1], -v[20:21]
	v_add_f64 v[81:82], v[20:21], -v[0:1]
	;; [unrolled: 1-line block ×3, first 2 shown]
	v_fma_f64 v[36:37], v[95:96], s[0:1], v[8:9]
	v_fma_f64 v[8:9], v[95:96], s[4:5], v[8:9]
	;; [unrolled: 1-line block ×4, first 2 shown]
	v_add_f64 v[87:88], v[22:23], -v[2:3]
	v_fma_f64 v[89:90], v[99:100], s[4:5], v[10:11]
	v_fma_f64 v[10:11], v[99:100], s[0:1], v[10:11]
	v_add_f64 v[12:13], v[16:17], v[12:13]
	v_add_f64 v[14:15], v[18:19], v[14:15]
	v_fma_f64 v[16:17], v[95:96], s[10:11], v[24:25]
	v_fma_f64 v[18:19], v[95:96], s[12:13], v[26:27]
	;; [unrolled: 1-line block ×9, first 2 shown]
	v_add_f64 v[20:21], v[20:21], v[28:29]
	v_add_f64 v[22:23], v[22:23], v[30:31]
	;; [unrolled: 1-line block ×5, first 2 shown]
	v_fma_f64 v[24:25], v[38:39], s[10:11], v[36:37]
	v_fma_f64 v[8:9], v[38:39], s[12:13], v[8:9]
	;; [unrolled: 1-line block ×4, first 2 shown]
	v_add_f64 v[34:35], v[87:88], v[34:35]
	v_fma_f64 v[28:29], v[99:100], s[10:11], v[63:64]
	v_fma_f64 v[30:31], v[97:98], s[12:13], v[89:90]
	;; [unrolled: 1-line block ×3, first 2 shown]
	v_add_f64 v[4:5], v[4:5], v[12:13]
	v_add_f64 v[6:7], v[6:7], v[14:15]
	v_mul_f64 v[44:45], v[57:58], s[16:17]
	v_mul_f64 v[57:58], v[57:58], s[12:13]
	;; [unrolled: 1-line block ×8, first 2 shown]
	v_add_f64 v[20:21], v[0:1], v[20:21]
	v_add_f64 v[22:23], v[2:3], v[22:23]
	v_fma_f64 v[73:74], v[69:70], s[14:15], v[16:17]
	v_fma_f64 v[69:70], v[69:70], s[14:15], v[18:19]
	v_fma_f64 v[26:27], v[71:72], s[14:15], v[26:27]
	v_fma_f64 v[75:76], v[32:33], s[14:15], v[24:25]
	v_fma_f64 v[32:33], v[32:33], s[14:15], v[8:9]
	v_and_b32_e32 v0, 0xff, v56
	v_fma_f64 v[71:72], v[71:72], s[14:15], v[28:29]
	v_fma_f64 v[30:31], v[34:35], s[14:15], v[30:31]
	;; [unrolled: 1-line block ×6, first 2 shown]
	v_fma_f64 v[44:45], v[65:66], s[4:5], -v[48:49]
	v_fma_f64 v[48:49], v[38:39], s[14:15], v[59:60]
	v_fma_f64 v[42:43], v[42:43], s[0:1], -v[61:62]
	v_fma_f64 v[46:47], v[67:68], s[10:11], -v[50:51]
	v_fma_f64 v[50:51], v[40:41], s[12:13], -v[63:64]
	v_mul_lo_u16 v38, 0xcd, v0
	v_add_f64 v[0:1], v[4:5], v[20:21]
	v_add_f64 v[2:3], v[6:7], v[22:23]
	v_add_f64 v[4:5], v[20:21], -v[4:5]
	v_add_f64 v[6:7], v[22:23], -v[6:7]
	v_add_f64 v[8:9], v[73:74], v[24:25]
	v_add_f64 v[10:11], v[26:27], v[36:37]
	;; [unrolled: 1-line block ×8, first 2 shown]
	v_add_f64 v[24:25], v[73:74], -v[24:25]
	v_add_f64 v[26:27], v[26:27], -v[36:37]
	;; [unrolled: 1-line block ×6, first 2 shown]
	v_lshrrev_b16 v37, 11, v38
	v_add_f64 v[39:40], v[69:70], -v[46:47]
	v_add_f64 v[41:42], v[71:72], -v[50:51]
	s_delay_alu instid0(VALU_DEP_3) | instskip(SKIP_1) | instid1(VALU_DEP_2)
	v_mul_lo_u16 v36, v37, 10
	v_and_b32_e32 v37, 0xffff, v37
	v_sub_nc_u16 v36, v56, v36
	s_delay_alu instid0(VALU_DEP_2) | instskip(NEXT) | instid1(VALU_DEP_2)
	v_mul_u32_u24_e32 v37, 0x640, v37
	v_and_b32_e32 v38, 0xff, v36
	v_mul_u32_u24_e32 v36, 10, v56
	s_delay_alu instid0(VALU_DEP_2) | instskip(NEXT) | instid1(VALU_DEP_2)
	v_mul_u32_u24_e32 v43, 9, v38
	v_lshl_add_u32 v36, v36, 4, 0
	v_lshlrev_b32_e32 v38, 4, v38
	ds_store_b128 v36, v[0:3]
	ds_store_b128 v36, v[8:11] offset:16
	ds_store_b128 v36, v[12:15] offset:32
	;; [unrolled: 1-line block ×9, first 2 shown]
	v_lshlrev_b32_e32 v43, 4, v43
	s_waitcnt lgkmcnt(0)
	s_barrier
	buffer_gl0_inv
	s_clause 0x8
	global_load_b128 v[0:3], v43, s[8:9] offset:32
	global_load_b128 v[4:7], v43, s[8:9] offset:64
	;; [unrolled: 1-line block ×4, first 2 shown]
	global_load_b128 v[16:19], v43, s[8:9]
	global_load_b128 v[20:23], v43, s[8:9] offset:16
	global_load_b128 v[24:27], v43, s[8:9] offset:48
	;; [unrolled: 1-line block ×4, first 2 shown]
	v_mad_i32_i24 v51, 0xffffff70, v56, v36
	ds_load_b128 v[39:42], v51 offset:6240
	ds_load_b128 v[43:46], v51 offset:10400
	ds_load_b128 v[47:50], v51 offset:14560
	ds_load_b128 v[57:60], v51 offset:18720
	ds_load_b128 v[61:64], v51 offset:4160
	ds_load_b128 v[65:68], v51 offset:8320
	ds_load_b128 v[69:72], v51 offset:12480
	ds_load_b128 v[73:76], v51 offset:16640
	ds_load_b128 v[77:80], v51 offset:2080
	ds_load_b128 v[81:84], v51
	v_add3_u32 v37, 0, v37, v38
	s_waitcnt vmcnt(0) lgkmcnt(0)
	s_barrier
	buffer_gl0_inv
	v_mul_f64 v[85:86], v[41:42], v[2:3]
	v_mul_f64 v[2:3], v[39:40], v[2:3]
	;; [unrolled: 1-line block ×10, first 2 shown]
	v_fma_f64 v[39:40], v[39:40], v[0:1], -v[85:86]
	v_fma_f64 v[0:1], v[41:42], v[0:1], v[2:3]
	v_fma_f64 v[2:3], v[43:44], v[4:5], -v[87:88]
	v_fma_f64 v[4:5], v[45:46], v[4:5], v[6:7]
	v_fma_f64 v[6:7], v[49:50], v[8:9], v[89:90]
	;; [unrolled: 1-line block ×3, first 2 shown]
	v_fma_f64 v[12:13], v[57:58], v[12:13], -v[14:15]
	v_fma_f64 v[8:9], v[47:48], v[8:9], -v[10:11]
	v_mul_f64 v[10:11], v[63:64], v[22:23]
	v_mul_f64 v[14:15], v[67:68], v[26:27]
	;; [unrolled: 1-line block ×8, first 2 shown]
	v_fma_f64 v[47:48], v[77:78], v[16:17], -v[93:94]
	v_fma_f64 v[16:17], v[79:80], v[16:17], v[18:19]
	v_add_f64 v[77:78], v[0:1], -v[4:5]
	v_add_f64 v[18:19], v[4:5], v[6:7]
	v_add_f64 v[49:50], v[0:1], v[41:42]
	;; [unrolled: 1-line block ×4, first 2 shown]
	v_fma_f64 v[10:11], v[61:62], v[20:21], -v[10:11]
	v_fma_f64 v[14:15], v[65:66], v[24:25], -v[14:15]
	v_fma_f64 v[24:25], v[67:68], v[24:25], v[26:27]
	v_fma_f64 v[26:27], v[69:70], v[28:29], -v[43:44]
	v_fma_f64 v[43:44], v[73:74], v[32:33], -v[45:46]
	v_fma_f64 v[28:29], v[71:72], v[28:29], v[30:31]
	v_fma_f64 v[20:21], v[63:64], v[20:21], v[22:23]
	;; [unrolled: 1-line block ×3, first 2 shown]
	v_add_f64 v[30:31], v[0:1], -v[41:42]
	v_add_f64 v[32:33], v[4:5], -v[6:7]
	v_add_f64 v[34:35], v[39:40], -v[12:13]
	v_add_f64 v[45:46], v[2:3], -v[8:9]
	v_add_f64 v[69:70], v[39:40], -v[2:3]
	v_add_f64 v[71:72], v[12:13], -v[8:9]
	v_add_f64 v[73:74], v[2:3], -v[39:40]
	v_add_f64 v[75:76], v[8:9], -v[12:13]
	v_add_f64 v[79:80], v[41:42], -v[6:7]
	v_add_f64 v[85:86], v[4:5], -v[0:1]
	v_add_f64 v[87:88], v[6:7], -v[41:42]
	v_add_f64 v[39:40], v[47:48], v[39:40]
	v_add_f64 v[0:1], v[16:17], v[0:1]
	v_fma_f64 v[18:19], v[18:19], -0.5, v[16:17]
	v_fma_f64 v[49:50], v[49:50], -0.5, v[16:17]
	;; [unrolled: 1-line block ×4, first 2 shown]
	v_add_f64 v[97:98], v[81:82], v[10:11]
	v_add_f64 v[61:62], v[14:15], v[26:27]
	;; [unrolled: 1-line block ×6, first 2 shown]
	v_add_f64 v[16:17], v[20:21], -v[22:23]
	v_add_f64 v[47:48], v[24:25], -v[28:29]
	;; [unrolled: 1-line block ×4, first 2 shown]
	v_add_f64 v[69:70], v[69:70], v[71:72]
	v_add_f64 v[71:72], v[73:74], v[75:76]
	;; [unrolled: 1-line block ×4, first 2 shown]
	v_add_f64 v[85:86], v[22:23], -v[28:29]
	v_add_f64 v[87:88], v[28:29], -v[22:23]
	v_add_f64 v[2:3], v[39:40], v[2:3]
	v_add_f64 v[0:1], v[0:1], v[4:5]
	v_fma_f64 v[89:90], v[34:35], s[0:1], v[18:19]
	v_fma_f64 v[91:92], v[45:46], s[4:5], v[49:50]
	;; [unrolled: 1-line block ×8, first 2 shown]
	v_fma_f64 v[61:62], v[61:62], -0.5, v[81:82]
	v_fma_f64 v[63:64], v[63:64], -0.5, v[81:82]
	;; [unrolled: 1-line block ×4, first 2 shown]
	v_add_f64 v[2:3], v[2:3], v[8:9]
	v_add_f64 v[0:1], v[0:1], v[6:7]
	v_fma_f64 v[77:78], v[45:46], s[12:13], v[89:90]
	v_fma_f64 v[79:80], v[34:35], s[12:13], v[91:92]
	;; [unrolled: 1-line block ×8, first 2 shown]
	v_add_f64 v[45:46], v[10:11], -v[14:15]
	v_add_f64 v[49:50], v[43:44], -v[26:27]
	;; [unrolled: 1-line block ×6, first 2 shown]
	v_add_f64 v[14:15], v[97:98], v[14:15]
	v_add_f64 v[24:25], v[99:100], v[24:25]
	v_fma_f64 v[4:5], v[16:17], s[4:5], v[61:62]
	v_fma_f64 v[39:40], v[16:17], s[0:1], v[61:62]
	;; [unrolled: 1-line block ×8, first 2 shown]
	v_add_f64 v[12:13], v[2:3], v[12:13]
	v_fma_f64 v[77:78], v[73:74], s[14:15], v[77:78]
	v_fma_f64 v[79:80], v[75:76], s[14:15], v[79:80]
	;; [unrolled: 1-line block ×8, first 2 shown]
	v_add_f64 v[45:46], v[45:46], v[49:50]
	v_add_f64 v[10:11], v[10:11], v[57:58]
	;; [unrolled: 1-line block ×6, first 2 shown]
	v_fma_f64 v[4:5], v[47:48], s[10:11], v[4:5]
	v_fma_f64 v[6:7], v[47:48], s[12:13], v[39:40]
	;; [unrolled: 1-line block ×8, first 2 shown]
	v_mul_f64 v[57:58], v[77:78], s[10:11]
	v_mul_f64 v[59:60], v[79:80], s[4:5]
	;; [unrolled: 1-line block ×8, first 2 shown]
	v_add_f64 v[14:15], v[14:15], v[43:44]
	v_add_f64 v[22:23], v[24:25], v[22:23]
	;; [unrolled: 1-line block ×3, first 2 shown]
	v_fma_f64 v[41:42], v[45:46], s[14:15], v[4:5]
	v_fma_f64 v[43:44], v[45:46], s[14:15], v[6:7]
	;; [unrolled: 1-line block ×10, first 2 shown]
	v_fma_f64 v[32:33], v[34:35], s[4:5], -v[61:62]
	v_fma_f64 v[34:35], v[18:19], s[10:11], -v[63:64]
	v_fma_f64 v[50:51], v[77:78], s[16:17], v[65:66]
	v_fma_f64 v[57:58], v[79:80], s[14:15], v[67:68]
	v_fma_f64 v[59:60], v[81:82], s[0:1], -v[69:70]
	v_fma_f64 v[61:62], v[83:84], s[12:13], -v[71:72]
	v_cmp_gt_u32_e64 s0, 0x64, v56
	v_add_f64 v[0:1], v[14:15], v[12:13]
	v_add_f64 v[20:21], v[14:15], -v[12:13]
	v_add_f64 v[2:3], v[22:23], v[24:25]
	v_add_f64 v[22:23], v[22:23], -v[24:25]
	v_add_f64 v[12:13], v[41:42], v[28:29]
	v_add_f64 v[4:5], v[45:46], v[30:31]
	;; [unrolled: 1-line block ×8, first 2 shown]
	v_add_f64 v[48:49], v[41:42], -v[28:29]
	v_add_f64 v[24:25], v[45:46], -v[30:31]
	;; [unrolled: 1-line block ×8, first 2 shown]
                                        ; implicit-def: $vgpr46_vgpr47
                                        ; implicit-def: $vgpr42_vgpr43
                                        ; implicit-def: $vgpr38_vgpr39
	ds_store_b128 v37, v[0:3]
	ds_store_b128 v37, v[12:15] offset:160
	ds_store_b128 v37, v[4:7] offset:320
	;; [unrolled: 1-line block ×9, first 2 shown]
	s_waitcnt lgkmcnt(0)
	s_barrier
	buffer_gl0_inv
	s_and_saveexec_b32 s1, s0
	s_cbranch_execz .LBB0_15
; %bb.14:
	v_mul_i32_i24_e32 v0, 0xffffff70, v56
	s_delay_alu instid0(VALU_DEP_1)
	v_add_nc_u32_e32 v44, v36, v0
	ds_load_b128 v[0:3], v44
	ds_load_b128 v[12:15], v44 offset:1600
	ds_load_b128 v[4:7], v44 offset:3200
	;; [unrolled: 1-line block ×12, first 2 shown]
.LBB0_15:
	s_or_b32 exec_lo, exec_lo, s1
	v_cmp_gt_u32_e64 s1, 0x64, v56
	s_delay_alu instid0(VALU_DEP_1) | instskip(NEXT) | instid1(SALU_CYCLE_1)
	s_and_b32 s1, vcc_lo, s1
	s_and_saveexec_b32 s4, s1
	s_cbranch_execz .LBB0_17
; %bb.16:
	v_dual_mov_b32 v60, 0 :: v_dual_add_nc_u32 v57, 0xffffff9c, v56
	s_mov_b32 s4, 0x4bc48dbf
	s_mov_b32 s5, 0x3fcea1e5
	s_mov_b32 s15, 0xbfcea1e5
	s_delay_alu instid0(VALU_DEP_1)
	v_cndmask_b32_e64 v57, v57, v56, s0
	s_mov_b32 s0, 0x93053d00
	s_mov_b32 s1, 0xbfef11f4
	;; [unrolled: 1-line block ×4, first 2 shown]
	v_mul_i32_i24_e32 v59, 12, v57
	s_mov_b32 s11, 0xbfddbe06
	s_mov_b32 s13, 0x3fddbe06
	;; [unrolled: 1-line block ×4, first 2 shown]
	v_lshlrev_b64 v[57:58], 4, v[59:60]
	s_mov_b32 s17, 0xbfe7f3cc
	s_mov_b32 s18, 0x24c2f84
	s_mov_b32 s19, 0x3fe5384d
	s_mov_b32 s29, 0xbfe5384d
	s_mov_b32 s28, s18
	v_add_co_u32 v63, vcc_lo, s8, v57
	v_add_co_ci_u32_e32 v64, vcc_lo, s9, v58, vcc_lo
	s_mov_b32 s8, 0xe00740e9
	s_mov_b32 s9, 0x3fec55a7
	;; [unrolled: 1-line block ×3, first 2 shown]
	s_clause 0x1
	global_load_b128 v[65:68], v[63:64], off offset:1520
	global_load_b128 v[69:72], v[63:64], off offset:1504
	s_mov_b32 s21, 0x3fe22d96
	s_mov_b32 s36, 0x42a4c3d2
	;; [unrolled: 1-line block ×17, first 2 shown]
	v_mul_lo_u32 v55, s2, v55
	v_lshlrev_b64 v[52:53], 4, v[52:53]
	s_waitcnt vmcnt(1) lgkmcnt(6)
	v_mul_f64 v[57:58], v[50:51], v[65:66]
	v_mul_f64 v[50:51], v[50:51], v[67:68]
	s_delay_alu instid0(VALU_DEP_2) | instskip(NEXT) | instid1(VALU_DEP_2)
	v_fma_f64 v[58:59], v[48:49], v[67:68], v[57:58]
	v_fma_f64 v[48:49], v[48:49], v[65:66], -v[50:51]
	s_clause 0x1
	global_load_b128 v[65:68], v[63:64], off offset:1440
	global_load_b128 v[73:76], v[63:64], off offset:1456
	v_mul_lo_u32 v57, s3, v54
	s_waitcnt vmcnt(1)
	v_mul_f64 v[50:51], v[14:15], v[65:66]
	v_mul_f64 v[14:15], v[14:15], v[67:68]
	s_delay_alu instid0(VALU_DEP_2) | instskip(NEXT) | instid1(VALU_DEP_2)
	v_fma_f64 v[50:51], v[12:13], v[67:68], v[50:51]
	v_fma_f64 v[61:62], v[12:13], v[65:66], -v[14:15]
	s_clause 0x1
	global_load_b128 v[65:68], v[63:64], off offset:1616
	global_load_b128 v[77:80], v[63:64], off offset:1600
	s_waitcnt vmcnt(1) lgkmcnt(0)
	v_mul_f64 v[12:13], v[46:47], v[65:66]
	v_mul_f64 v[14:15], v[46:47], v[67:68]
	s_delay_alu instid0(VALU_DEP_2) | instskip(NEXT) | instid1(VALU_DEP_2)
	v_fma_f64 v[12:13], v[44:45], v[67:68], v[12:13]
	v_fma_f64 v[14:15], v[44:45], v[65:66], -v[14:15]
	s_clause 0x1
	global_load_b128 v[65:68], v[63:64], off offset:1536
	global_load_b128 v[81:84], v[63:64], off offset:1552
	v_add_f64 v[101:102], v[50:51], -v[12:13]
	v_add_f64 v[103:104], v[61:62], v[14:15]
	s_delay_alu instid0(VALU_DEP_2)
	v_mul_f64 v[93:94], v[101:102], s[14:15]
	v_mul_f64 v[147:148], v[101:102], s[38:39]
	;; [unrolled: 1-line block ×4, first 2 shown]
	s_waitcnt vmcnt(1)
	v_mul_f64 v[44:45], v[26:27], v[65:66]
	v_mul_f64 v[26:27], v[26:27], v[67:68]
	s_delay_alu instid0(VALU_DEP_2) | instskip(NEXT) | instid1(VALU_DEP_2)
	v_fma_f64 v[44:45], v[24:25], v[67:68], v[44:45]
	v_fma_f64 v[24:25], v[24:25], v[65:66], -v[26:27]
	v_mul_f64 v[26:27], v[22:23], v[69:70]
	v_mul_f64 v[22:23], v[22:23], v[71:72]
	s_delay_alu instid0(VALU_DEP_4) | instskip(SKIP_1) | instid1(VALU_DEP_4)
	v_add_f64 v[127:128], v[58:59], v[44:45]
	v_add_f64 v[131:132], v[58:59], -v[44:45]
	v_fma_f64 v[26:27], v[20:21], v[71:72], v[26:27]
	s_delay_alu instid0(VALU_DEP_4)
	v_fma_f64 v[46:47], v[20:21], v[69:70], -v[22:23]
	s_clause 0x1
	global_load_b128 v[65:68], v[63:64], off offset:1488
	global_load_b128 v[69:72], v[63:64], off offset:1472
	s_waitcnt vmcnt(2)
	v_mul_f64 v[20:21], v[34:35], v[81:82]
	v_mul_f64 v[22:23], v[34:35], v[83:84]
	;; [unrolled: 1-line block ×7, first 2 shown]
	v_fma_f64 v[20:21], v[32:33], v[83:84], v[20:21]
	v_fma_f64 v[22:23], v[32:33], v[81:82], -v[22:23]
	v_mul_f64 v[165:166], v[131:132], s[22:23]
	v_mul_f64 v[187:188], v[127:128], s[16:17]
	;; [unrolled: 1-line block ×5, first 2 shown]
	v_add_f64 v[119:120], v[26:27], v[20:21]
	v_add_f64 v[123:124], v[26:27], -v[20:21]
	s_delay_alu instid0(VALU_DEP_2) | instskip(NEXT) | instid1(VALU_DEP_2)
	v_mul_f64 v[121:122], v[119:120], s[24:25]
	v_mul_f64 v[125:126], v[123:124], s[38:39]
	;; [unrolled: 1-line block ×7, first 2 shown]
	s_waitcnt vmcnt(1)
	v_mul_f64 v[32:33], v[18:19], v[65:66]
	v_mul_f64 v[18:19], v[18:19], v[67:68]
	s_delay_alu instid0(VALU_DEP_2) | instskip(NEXT) | instid1(VALU_DEP_2)
	v_fma_f64 v[32:33], v[16:17], v[67:68], v[32:33]
	v_fma_f64 v[34:35], v[16:17], v[65:66], -v[18:19]
	s_clause 0x1
	global_load_b128 v[65:68], v[63:64], off offset:1568
	global_load_b128 v[81:84], v[63:64], off offset:1584
	s_waitcnt vmcnt(1)
	v_mul_f64 v[16:17], v[30:31], v[65:66]
	v_mul_f64 v[18:19], v[30:31], v[67:68]
	s_delay_alu instid0(VALU_DEP_2) | instskip(NEXT) | instid1(VALU_DEP_2)
	v_fma_f64 v[16:17], v[28:29], v[67:68], v[16:17]
	v_fma_f64 v[18:19], v[28:29], v[65:66], -v[18:19]
	v_mul_f64 v[28:29], v[10:11], v[69:70]
	v_mul_f64 v[10:11], v[10:11], v[71:72]
	s_delay_alu instid0(VALU_DEP_4) | instskip(SKIP_1) | instid1(VALU_DEP_4)
	v_add_f64 v[111:112], v[32:33], v[16:17]
	v_add_f64 v[115:116], v[32:33], -v[16:17]
	v_fma_f64 v[28:29], v[8:9], v[71:72], v[28:29]
	s_delay_alu instid0(VALU_DEP_4)
	v_fma_f64 v[30:31], v[8:9], v[69:70], -v[10:11]
	s_waitcnt vmcnt(0)
	v_mul_f64 v[8:9], v[38:39], v[81:82]
	v_mul_f64 v[10:11], v[38:39], v[83:84]
	;; [unrolled: 1-line block ×6, first 2 shown]
	v_fma_f64 v[8:9], v[36:37], v[83:84], v[8:9]
	v_fma_f64 v[10:11], v[36:37], v[81:82], -v[10:11]
	v_mul_f64 v[36:37], v[6:7], v[73:74]
	v_mul_f64 v[6:7], v[6:7], v[75:76]
	;; [unrolled: 1-line block ×4, first 2 shown]
	v_add_f64 v[107:108], v[28:29], v[8:9]
	v_add_f64 v[109:110], v[28:29], -v[8:9]
	v_fma_f64 v[36:37], v[4:5], v[75:76], v[36:37]
	v_fma_f64 v[38:39], v[4:5], v[73:74], -v[6:7]
	v_mul_f64 v[4:5], v[42:43], v[77:78]
	v_mul_f64 v[6:7], v[42:43], v[79:80]
	v_add_f64 v[42:43], v[50:51], v[12:13]
	v_add_f64 v[50:51], v[2:3], v[50:51]
	v_mul_f64 v[97:98], v[107:108], s[16:17]
	v_mul_f64 v[99:100], v[109:110], s[28:29]
	;; [unrolled: 1-line block ×4, first 2 shown]
	v_fma_f64 v[4:5], v[40:41], v[79:80], v[4:5]
	v_fma_f64 v[6:7], v[40:41], v[77:78], -v[6:7]
	v_add_f64 v[40:41], v[61:62], -v[14:15]
	v_mul_f64 v[89:90], v[42:43], s[0:1]
	v_mul_f64 v[143:144], v[42:43], s[24:25]
	v_mul_f64 v[167:168], v[42:43], s[30:31]
	v_mul_f64 v[175:176], v[107:108], s[24:25]
	v_mul_f64 v[177:178], v[109:110], s[26:27]
	v_mul_f64 v[191:192], v[42:43], s[20:21]
	v_add_f64 v[81:82], v[36:37], v[4:5]
	v_add_f64 v[105:106], v[36:37], -v[4:5]
	v_add_f64 v[36:37], v[36:37], v[50:51]
	v_fma_f64 v[63:64], v[40:41], s[14:15], v[89:90]
	v_fma_f64 v[89:90], v[40:41], s[4:5], v[89:90]
	v_mul_f64 v[91:92], v[81:82], s[8:9]
	v_mul_f64 v[95:96], v[105:106], s[12:13]
	v_mul_f64 v[145:146], v[81:82], s[16:17]
	v_add_f64 v[65:66], v[2:3], v[63:64]
	v_add_f64 v[63:64], v[38:39], -v[6:7]
	v_add_f64 v[89:90], v[2:3], v[89:90]
	v_mul_f64 v[149:150], v[105:106], s[18:19]
	v_mul_f64 v[169:170], v[81:82], s[0:1]
	;; [unrolled: 1-line block ×5, first 2 shown]
	v_add_f64 v[28:29], v[28:29], v[36:37]
	v_fma_f64 v[67:68], v[63:64], s[12:13], v[91:92]
	v_fma_f64 v[91:92], v[63:64], s[10:11], v[91:92]
	s_delay_alu instid0(VALU_DEP_3) | instskip(NEXT) | instid1(VALU_DEP_3)
	v_add_f64 v[28:29], v[32:33], v[28:29]
	v_add_f64 v[69:70], v[67:68], v[65:66]
	v_fma_f64 v[65:66], v[103:104], s[0:1], -v[93:94]
	s_delay_alu instid0(VALU_DEP_4) | instskip(SKIP_2) | instid1(VALU_DEP_4)
	v_add_f64 v[89:90], v[91:92], v[89:90]
	v_fma_f64 v[91:92], v[103:104], s[0:1], v[93:94]
	v_add_f64 v[26:27], v[26:27], v[28:29]
	v_add_f64 v[67:68], v[0:1], v[65:66]
	;; [unrolled: 1-line block ×3, first 2 shown]
	s_delay_alu instid0(VALU_DEP_4) | instskip(NEXT) | instid1(VALU_DEP_4)
	v_add_f64 v[91:92], v[0:1], v[91:92]
	v_add_f64 v[26:27], v[58:59], v[26:27]
	s_delay_alu instid0(VALU_DEP_3) | instskip(SKIP_2) | instid1(VALU_DEP_4)
	v_fma_f64 v[71:72], v[65:66], s[8:9], -v[95:96]
	v_fma_f64 v[93:94], v[65:66], s[8:9], v[95:96]
	v_fma_f64 v[199:200], v[65:66], s[24:25], v[197:198]
	v_add_f64 v[26:27], v[44:45], v[26:27]
	s_delay_alu instid0(VALU_DEP_4) | instskip(SKIP_2) | instid1(VALU_DEP_4)
	v_add_f64 v[71:72], v[71:72], v[67:68]
	v_add_f64 v[67:68], v[30:31], -v[10:11]
	v_add_f64 v[91:92], v[93:94], v[91:92]
	v_add_f64 v[20:21], v[20:21], v[26:27]
	s_delay_alu instid0(VALU_DEP_3)
	v_fma_f64 v[73:74], v[67:68], s[28:29], v[97:98]
	v_fma_f64 v[93:94], v[67:68], s[18:19], v[97:98]
	v_mul_f64 v[97:98], v[42:43], s[16:17]
	v_mul_f64 v[42:43], v[42:43], s[8:9]
	v_add_f64 v[16:17], v[16:17], v[20:21]
	v_add_f64 v[73:74], v[73:74], v[69:70]
	;; [unrolled: 1-line block ×4, first 2 shown]
	s_delay_alu instid0(VALU_DEP_4) | instskip(NEXT) | instid1(VALU_DEP_3)
	v_add_f64 v[8:9], v[8:9], v[16:17]
	v_fma_f64 v[75:76], v[69:70], s[16:17], -v[99:100]
	v_fma_f64 v[93:94], v[69:70], s[16:17], v[99:100]
	v_mul_f64 v[99:100], v[81:82], s[30:31]
	s_delay_alu instid0(VALU_DEP_4) | instskip(NEXT) | instid1(VALU_DEP_4)
	v_add_f64 v[4:5], v[4:5], v[8:9]
	v_add_f64 v[75:76], v[75:76], v[71:72]
	v_add_f64 v[71:72], v[34:35], -v[18:19]
	v_add_f64 v[91:92], v[93:94], v[91:92]
	s_delay_alu instid0(VALU_DEP_2) | instskip(SKIP_2) | instid1(VALU_DEP_3)
	v_fma_f64 v[77:78], v[71:72], s[22:23], v[113:114]
	v_fma_f64 v[93:94], v[71:72], s[36:37], v[113:114]
	v_mul_f64 v[113:114], v[101:102], s[28:29]
	v_add_f64 v[77:78], v[77:78], v[73:74]
	v_add_f64 v[73:74], v[34:35], v[18:19]
	s_delay_alu instid0(VALU_DEP_4) | instskip(NEXT) | instid1(VALU_DEP_2)
	v_add_f64 v[89:90], v[93:94], v[89:90]
	v_fma_f64 v[79:80], v[73:74], s[20:21], -v[117:118]
	v_fma_f64 v[93:94], v[73:74], s[20:21], v[117:118]
	v_mul_f64 v[117:118], v[105:106], s[34:35]
	s_delay_alu instid0(VALU_DEP_3) | instskip(SKIP_1) | instid1(VALU_DEP_4)
	v_add_f64 v[79:80], v[79:80], v[75:76]
	v_add_f64 v[75:76], v[46:47], -v[22:23]
	v_add_f64 v[91:92], v[93:94], v[91:92]
	s_delay_alu instid0(VALU_DEP_2) | instskip(SKIP_2) | instid1(VALU_DEP_3)
	v_fma_f64 v[83:84], v[75:76], s[38:39], v[121:122]
	v_fma_f64 v[93:94], v[75:76], s[26:27], v[121:122]
	v_mul_f64 v[121:122], v[107:108], s[20:21]
	v_add_f64 v[83:84], v[83:84], v[77:78]
	v_add_f64 v[77:78], v[46:47], v[22:23]
	s_delay_alu instid0(VALU_DEP_4) | instskip(NEXT) | instid1(VALU_DEP_2)
	v_add_f64 v[89:90], v[93:94], v[89:90]
	v_fma_f64 v[85:86], v[77:78], s[24:25], -v[125:126]
	v_fma_f64 v[93:94], v[77:78], s[24:25], v[125:126]
	v_mul_f64 v[125:126], v[109:110], s[36:37]
	s_delay_alu instid0(VALU_DEP_3) | instskip(SKIP_1) | instid1(VALU_DEP_4)
	v_add_f64 v[85:86], v[85:86], v[79:80]
	v_add_f64 v[79:80], v[48:49], -v[24:25]
	v_add_f64 v[93:94], v[93:94], v[91:92]
	s_delay_alu instid0(VALU_DEP_2) | instskip(SKIP_2) | instid1(VALU_DEP_3)
	v_fma_f64 v[87:88], v[79:80], s[34:35], v[129:130]
	v_fma_f64 v[91:92], v[79:80], s[40:41], v[129:130]
	v_mul_f64 v[129:130], v[111:112], s[0:1]
	v_add_f64 v[87:88], v[87:88], v[83:84]
	v_add_f64 v[83:84], v[48:49], v[24:25]
	s_delay_alu instid0(VALU_DEP_4) | instskip(NEXT) | instid1(VALU_DEP_2)
	v_add_f64 v[91:92], v[91:92], v[89:90]
	v_fma_f64 v[95:96], v[83:84], s[30:31], v[133:134]
	v_fma_f64 v[135:136], v[83:84], s[30:31], -v[133:134]
	v_mul_f64 v[133:134], v[115:116], s[4:5]
	s_delay_alu instid0(VALU_DEP_3) | instskip(SKIP_1) | instid1(VALU_DEP_4)
	v_add_f64 v[89:90], v[95:96], v[93:94]
	v_mad_u64_u32 v[93:94], null, s2, v54, 0
	v_add_f64 v[85:86], v[135:136], v[85:86]
	v_mul_f64 v[135:136], v[119:120], s[8:9]
	v_fma_f64 v[95:96], v[63:64], s[26:27], v[193:194]
	s_delay_alu instid0(VALU_DEP_4) | instskip(SKIP_2) | instid1(VALU_DEP_3)
	v_add3_u32 v94, v94, v55, v57
	v_mov_b32_e32 v57, v60
	v_add_f64 v[60:61], v[0:1], v[61:62]
	v_lshlrev_b64 v[54:55], 4, v[93:94]
	v_fma_f64 v[93:94], v[65:66], s[0:1], v[173:174]
	s_delay_alu instid0(VALU_DEP_2) | instskip(NEXT) | instid1(VALU_DEP_3)
	v_add_co_u32 v54, vcc_lo, s6, v54
	v_add_co_ci_u32_e32 v55, vcc_lo, s7, v55, vcc_lo
	s_delay_alu instid0(VALU_DEP_2) | instskip(NEXT) | instid1(VALU_DEP_2)
	v_add_co_u32 v54, vcc_lo, v54, v52
	v_add_co_ci_u32_e32 v55, vcc_lo, v55, v53, vcc_lo
	v_lshlrev_b64 v[52:53], 4, v[56:57]
	s_delay_alu instid0(VALU_DEP_1) | instskip(NEXT) | instid1(VALU_DEP_2)
	v_add_co_u32 v56, vcc_lo, v54, v52
	v_add_co_ci_u32_e32 v57, vcc_lo, v55, v53, vcc_lo
	v_fma_f64 v[54:55], v[63:64], s[40:41], v[99:100]
	s_delay_alu instid0(VALU_DEP_3) | instskip(NEXT) | instid1(VALU_DEP_3)
	v_add_co_u32 v52, vcc_lo, 0x2000, v56
	v_add_co_ci_u32_e32 v53, vcc_lo, 0, v57, vcc_lo
	s_clause 0x1
	global_store_b128 v[52:53], v[85:88], off offset:1408
	global_store_b128 v[52:53], v[89:92], off offset:3008
	v_fma_f64 v[52:53], v[40:41], s[18:19], v[97:98]
	v_fma_f64 v[85:86], v[65:66], s[30:31], v[117:118]
	;; [unrolled: 1-line block ×5, first 2 shown]
	v_add_f64 v[38:39], v[38:39], v[60:61]
	v_add_f64 v[52:53], v[2:3], v[52:53]
	s_delay_alu instid0(VALU_DEP_2) | instskip(NEXT) | instid1(VALU_DEP_2)
	v_add_f64 v[30:31], v[30:31], v[38:39]
	v_add_f64 v[52:53], v[54:55], v[52:53]
	v_fma_f64 v[54:55], v[103:104], s[16:17], v[113:114]
	s_delay_alu instid0(VALU_DEP_3) | instskip(NEXT) | instid1(VALU_DEP_2)
	v_add_f64 v[30:31], v[34:35], v[30:31]
	v_add_f64 v[54:55], v[0:1], v[54:55]
	s_delay_alu instid0(VALU_DEP_2) | instskip(NEXT) | instid1(VALU_DEP_2)
	v_add_f64 v[28:29], v[46:47], v[30:31]
	v_add_f64 v[54:55], v[85:86], v[54:55]
	v_fma_f64 v[85:86], v[67:68], s[22:23], v[121:122]
	s_delay_alu instid0(VALU_DEP_3) | instskip(NEXT) | instid1(VALU_DEP_2)
	v_add_f64 v[28:29], v[48:49], v[28:29]
	v_add_f64 v[52:53], v[85:86], v[52:53]
	v_fma_f64 v[85:86], v[69:70], s[20:21], v[125:126]
	s_delay_alu instid0(VALU_DEP_3) | instskip(NEXT) | instid1(VALU_DEP_2)
	;; [unrolled: 4-line block ×5, first 2 shown]
	v_add_f64 v[10:11], v[10:11], v[18:19]
	v_add_f64 v[52:53], v[85:86], v[52:53]
	v_fma_f64 v[85:86], v[77:78], s[8:9], v[137:138]
	s_delay_alu instid0(VALU_DEP_3) | instskip(SKIP_1) | instid1(VALU_DEP_3)
	v_add_f64 v[8:9], v[6:7], v[10:11]
	v_add_f64 v[6:7], v[12:13], v[4:5]
	;; [unrolled: 1-line block ×3, first 2 shown]
	v_fma_f64 v[54:55], v[79:80], s[26:27], v[139:140]
	s_delay_alu instid0(VALU_DEP_4) | instskip(NEXT) | instid1(VALU_DEP_2)
	v_add_f64 v[4:5], v[14:15], v[8:9]
	v_add_f64 v[54:55], v[54:55], v[52:53]
	v_fma_f64 v[52:53], v[83:84], s[24:25], v[141:142]
	s_delay_alu instid0(VALU_DEP_1) | instskip(SKIP_1) | instid1(VALU_DEP_1)
	v_add_f64 v[52:53], v[52:53], v[85:86]
	v_fma_f64 v[85:86], v[40:41], s[26:27], v[143:144]
	v_add_f64 v[85:86], v[2:3], v[85:86]
	s_delay_alu instid0(VALU_DEP_1) | instskip(SKIP_1) | instid1(VALU_DEP_1)
	v_add_f64 v[85:86], v[87:88], v[85:86]
	v_fma_f64 v[87:88], v[103:104], s[24:25], v[147:148]
	v_add_f64 v[87:88], v[0:1], v[87:88]
	;; [unrolled: 4-line block ×3, first 2 shown]
	v_fma_f64 v[89:90], v[69:70], s[8:9], v[153:154]
	s_delay_alu instid0(VALU_DEP_1) | instskip(SKIP_1) | instid1(VALU_DEP_1)
	v_add_f64 v[87:88], v[89:90], v[87:88]
	v_fma_f64 v[89:90], v[71:72], s[34:35], v[155:156]
	v_add_f64 v[85:86], v[89:90], v[85:86]
	v_fma_f64 v[89:90], v[73:74], s[30:31], v[157:158]
	s_delay_alu instid0(VALU_DEP_1) | instskip(SKIP_1) | instid1(VALU_DEP_1)
	v_add_f64 v[87:88], v[89:90], v[87:88]
	v_fma_f64 v[89:90], v[75:76], s[14:15], v[159:160]
	v_add_f64 v[85:86], v[89:90], v[85:86]
	;; [unrolled: 5-line block ×4, first 2 shown]
	s_delay_alu instid0(VALU_DEP_1) | instskip(SKIP_1) | instid1(VALU_DEP_1)
	v_add_f64 v[89:90], v[91:92], v[89:90]
	v_fma_f64 v[91:92], v[103:104], s[30:31], v[171:172]
	v_add_f64 v[91:92], v[0:1], v[91:92]
	s_delay_alu instid0(VALU_DEP_1) | instskip(SKIP_1) | instid1(VALU_DEP_1)
	v_add_f64 v[91:92], v[93:94], v[91:92]
	v_fma_f64 v[93:94], v[67:68], s[38:39], v[175:176]
	v_add_f64 v[89:90], v[93:94], v[89:90]
	v_fma_f64 v[93:94], v[69:70], s[24:25], v[177:178]
	s_delay_alu instid0(VALU_DEP_1) | instskip(SKIP_1) | instid1(VALU_DEP_1)
	v_add_f64 v[91:92], v[93:94], v[91:92]
	v_fma_f64 v[93:94], v[71:72], s[10:11], v[179:180]
	v_add_f64 v[89:90], v[93:94], v[89:90]
	v_fma_f64 v[93:94], v[73:74], s[8:9], v[181:182]
	;; [unrolled: 5-line block ×4, first 2 shown]
	s_delay_alu instid0(VALU_DEP_1) | instskip(SKIP_1) | instid1(VALU_DEP_1)
	v_add_f64 v[89:90], v[89:90], v[93:94]
	v_fma_f64 v[93:94], v[40:41], s[22:23], v[191:192]
	v_add_f64 v[93:94], v[2:3], v[93:94]
	s_delay_alu instid0(VALU_DEP_1) | instskip(SKIP_1) | instid1(VALU_DEP_1)
	v_add_f64 v[93:94], v[95:96], v[93:94]
	v_fma_f64 v[95:96], v[103:104], s[20:21], v[195:196]
	v_add_f64 v[95:96], v[0:1], v[95:96]
	s_delay_alu instid0(VALU_DEP_1) | instskip(SKIP_1) | instid1(VALU_DEP_1)
	v_add_f64 v[95:96], v[199:200], v[95:96]
	v_mul_f64 v[199:200], v[107:108], s[0:1]
	v_fma_f64 v[201:202], v[67:68], s[4:5], v[199:200]
	s_delay_alu instid0(VALU_DEP_1) | instskip(SKIP_1) | instid1(VALU_DEP_1)
	v_add_f64 v[93:94], v[201:202], v[93:94]
	v_mul_f64 v[201:202], v[109:110], s[14:15]
	v_fma_f64 v[203:204], v[69:70], s[0:1], v[201:202]
	;; [unrolled: 4-line block ×6, first 2 shown]
	s_delay_alu instid0(VALU_DEP_1) | instskip(SKIP_1) | instid1(VALU_DEP_1)
	v_add_f64 v[211:212], v[211:212], v[95:96]
	v_fma_f64 v[95:96], v[79:80], s[10:11], v[213:214]
	v_add_f64 v[95:96], v[95:96], v[93:94]
	v_fma_f64 v[93:94], v[83:84], s[8:9], v[215:216]
	s_delay_alu instid0(VALU_DEP_1)
	v_add_f64 v[93:94], v[93:94], v[211:212]
	v_add_co_u32 v211, vcc_lo, 0x3000, v56
	v_add_co_ci_u32_e32 v212, vcc_lo, 0, v57, vcc_lo
	s_clause 0x1
	global_store_b128 v[211:212], v[52:55], off offset:512
	global_store_b128 v[211:212], v[85:88], off offset:2112
	v_fma_f64 v[52:53], v[40:41], s[28:29], v[97:98]
	v_fma_f64 v[54:55], v[63:64], s[34:35], v[99:100]
	v_fma_f64 v[85:86], v[65:66], s[30:31], -v[117:118]
	v_fma_f64 v[87:88], v[83:84], s[24:25], -v[141:142]
	global_store_b128 v[211:212], v[89:92], off offset:3712
	v_fma_f64 v[89:90], v[65:66], s[16:17], -v[149:150]
	v_fma_f64 v[91:92], v[83:84], s[20:21], -v[165:166]
	;; [unrolled: 1-line block ×5, first 2 shown]
	v_add_co_u32 v217, vcc_lo, 0x4000, v56
	v_add_co_ci_u32_e32 v218, vcc_lo, 0, v57, vcc_lo
	v_add_f64 v[52:53], v[2:3], v[52:53]
	s_delay_alu instid0(VALU_DEP_1) | instskip(SKIP_2) | instid1(VALU_DEP_2)
	v_add_f64 v[52:53], v[54:55], v[52:53]
	v_fma_f64 v[54:55], v[103:104], s[16:17], -v[113:114]
	v_fma_f64 v[113:114], v[65:66], s[24:25], -v[197:198]
	v_add_f64 v[54:55], v[0:1], v[54:55]
	s_delay_alu instid0(VALU_DEP_1) | instskip(SKIP_1) | instid1(VALU_DEP_1)
	v_add_f64 v[54:55], v[85:86], v[54:55]
	v_fma_f64 v[85:86], v[67:68], s[36:37], v[121:122]
	v_add_f64 v[52:53], v[85:86], v[52:53]
	v_fma_f64 v[85:86], v[69:70], s[20:21], -v[125:126]
	s_delay_alu instid0(VALU_DEP_1) | instskip(SKIP_1) | instid1(VALU_DEP_1)
	v_add_f64 v[54:55], v[85:86], v[54:55]
	v_fma_f64 v[85:86], v[71:72], s[4:5], v[129:130]
	v_add_f64 v[52:53], v[85:86], v[52:53]
	v_fma_f64 v[85:86], v[73:74], s[0:1], -v[133:134]
	s_delay_alu instid0(VALU_DEP_1) | instskip(SKIP_1) | instid1(VALU_DEP_1)
	v_add_f64 v[54:55], v[85:86], v[54:55]
	v_fma_f64 v[85:86], v[75:76], s[12:13], v[135:136]
	v_add_f64 v[52:53], v[85:86], v[52:53]
	v_fma_f64 v[85:86], v[77:78], s[8:9], -v[137:138]
	s_delay_alu instid0(VALU_DEP_1) | instskip(SKIP_1) | instid1(VALU_DEP_1)
	v_add_f64 v[85:86], v[85:86], v[54:55]
	v_fma_f64 v[54:55], v[79:80], s[38:39], v[139:140]
	v_add_f64 v[54:55], v[54:55], v[52:53]
	s_delay_alu instid0(VALU_DEP_3) | instskip(SKIP_2) | instid1(VALU_DEP_2)
	v_add_f64 v[52:53], v[87:88], v[85:86]
	v_fma_f64 v[85:86], v[40:41], s[38:39], v[143:144]
	v_fma_f64 v[87:88], v[63:64], s[18:19], v[145:146]
	v_add_f64 v[85:86], v[2:3], v[85:86]
	s_delay_alu instid0(VALU_DEP_1) | instskip(SKIP_1) | instid1(VALU_DEP_1)
	v_add_f64 v[85:86], v[87:88], v[85:86]
	v_fma_f64 v[87:88], v[103:104], s[24:25], -v[147:148]
	v_add_f64 v[87:88], v[0:1], v[87:88]
	s_delay_alu instid0(VALU_DEP_1) | instskip(SKIP_1) | instid1(VALU_DEP_1)
	v_add_f64 v[87:88], v[89:90], v[87:88]
	v_fma_f64 v[89:90], v[67:68], s[12:13], v[151:152]
	v_add_f64 v[85:86], v[89:90], v[85:86]
	v_fma_f64 v[89:90], v[69:70], s[8:9], -v[153:154]
	s_delay_alu instid0(VALU_DEP_1) | instskip(SKIP_1) | instid1(VALU_DEP_1)
	v_add_f64 v[87:88], v[89:90], v[87:88]
	v_fma_f64 v[89:90], v[71:72], s[40:41], v[155:156]
	v_add_f64 v[85:86], v[89:90], v[85:86]
	v_fma_f64 v[89:90], v[73:74], s[30:31], -v[157:158]
	s_delay_alu instid0(VALU_DEP_1) | instskip(SKIP_1) | instid1(VALU_DEP_1)
	v_add_f64 v[87:88], v[89:90], v[87:88]
	v_fma_f64 v[89:90], v[75:76], s[4:5], v[159:160]
	v_add_f64 v[85:86], v[89:90], v[85:86]
	v_fma_f64 v[89:90], v[77:78], s[0:1], -v[161:162]
	s_delay_alu instid0(VALU_DEP_1) | instskip(SKIP_1) | instid1(VALU_DEP_1)
	v_add_f64 v[89:90], v[89:90], v[87:88]
	v_fma_f64 v[87:88], v[79:80], s[22:23], v[163:164]
	v_add_f64 v[87:88], v[87:88], v[85:86]
	s_delay_alu instid0(VALU_DEP_3) | instskip(SKIP_2) | instid1(VALU_DEP_2)
	v_add_f64 v[85:86], v[91:92], v[89:90]
	v_fma_f64 v[89:90], v[40:41], s[40:41], v[167:168]
	v_fma_f64 v[91:92], v[63:64], s[14:15], v[169:170]
	v_add_f64 v[89:90], v[2:3], v[89:90]
	s_delay_alu instid0(VALU_DEP_1) | instskip(SKIP_1) | instid1(VALU_DEP_1)
	v_add_f64 v[89:90], v[91:92], v[89:90]
	;; [unrolled: 28-line block ×3, first 2 shown]
	v_fma_f64 v[99:100], v[103:104], s[20:21], -v[195:196]
	v_add_f64 v[99:100], v[0:1], v[99:100]
	s_delay_alu instid0(VALU_DEP_1) | instskip(SKIP_1) | instid1(VALU_DEP_1)
	v_add_f64 v[99:100], v[113:114], v[99:100]
	v_fma_f64 v[113:114], v[67:68], s[14:15], v[199:200]
	v_add_f64 v[97:98], v[113:114], v[97:98]
	v_fma_f64 v[113:114], v[69:70], s[0:1], -v[201:202]
	s_delay_alu instid0(VALU_DEP_1) | instskip(SKIP_1) | instid1(VALU_DEP_1)
	v_add_f64 v[99:100], v[113:114], v[99:100]
	v_fma_f64 v[113:114], v[71:72], s[18:19], v[203:204]
	v_add_f64 v[97:98], v[113:114], v[97:98]
	v_fma_f64 v[113:114], v[73:74], s[16:17], -v[205:206]
	;; [unrolled: 5-line block ×3, first 2 shown]
	s_delay_alu instid0(VALU_DEP_1) | instskip(SKIP_1) | instid1(VALU_DEP_1)
	v_add_f64 v[113:114], v[113:114], v[99:100]
	v_fma_f64 v[99:100], v[79:80], s[12:13], v[213:214]
	v_add_f64 v[99:100], v[99:100], v[97:98]
	s_delay_alu instid0(VALU_DEP_3)
	v_add_f64 v[97:98], v[117:118], v[113:114]
	v_add_co_u32 v113, vcc_lo, 0x1000, v56
	v_add_co_ci_u32_e32 v114, vcc_lo, 0, v57, vcc_lo
	s_clause 0x2
	global_store_b128 v[113:114], v[85:88], off offset:2304
	global_store_b128 v[113:114], v[52:55], off offset:3904
	global_store_b128 v[113:114], v[89:92], off offset:704
	v_fma_f64 v[52:53], v[40:41], s[12:13], v[42:43]
	v_fma_f64 v[40:41], v[40:41], s[10:11], v[42:43]
	v_mul_f64 v[42:43], v[101:102], s[10:11]
	s_delay_alu instid0(VALU_DEP_3) | instskip(NEXT) | instid1(VALU_DEP_3)
	v_add_f64 v[52:53], v[2:3], v[52:53]
	v_add_f64 v[2:3], v[2:3], v[40:41]
	s_delay_alu instid0(VALU_DEP_3) | instskip(SKIP_2) | instid1(VALU_DEP_3)
	v_fma_f64 v[54:55], v[103:104], s[8:9], v[42:43]
	v_fma_f64 v[42:43], v[103:104], s[8:9], -v[42:43]
	v_mul_f64 v[40:41], v[81:82], s[20:21]
	v_add_f64 v[54:55], v[0:1], v[54:55]
	s_delay_alu instid0(VALU_DEP_3) | instskip(NEXT) | instid1(VALU_DEP_3)
	v_add_f64 v[0:1], v[0:1], v[42:43]
	v_fma_f64 v[42:43], v[63:64], s[36:37], v[40:41]
	v_fma_f64 v[8:9], v[63:64], s[22:23], v[40:41]
	s_delay_alu instid0(VALU_DEP_2) | instskip(SKIP_1) | instid1(VALU_DEP_3)
	v_add_f64 v[2:3], v[42:43], v[2:3]
	v_mul_f64 v[42:43], v[105:106], s[36:37]
	v_add_f64 v[8:9], v[8:9], v[52:53]
	v_mul_f64 v[105:106], v[131:132], s[14:15]
	s_delay_alu instid0(VALU_DEP_3) | instskip(SKIP_1) | instid1(VALU_DEP_2)
	v_fma_f64 v[81:82], v[65:66], s[20:21], -v[42:43]
	v_fma_f64 v[10:11], v[65:66], s[20:21], v[42:43]
	v_add_f64 v[0:1], v[81:82], v[0:1]
	v_mul_f64 v[81:82], v[107:108], s[30:31]
	s_delay_alu instid0(VALU_DEP_3) | instskip(NEXT) | instid1(VALU_DEP_2)
	v_add_f64 v[10:11], v[10:11], v[54:55]
	v_fma_f64 v[85:86], v[67:68], s[40:41], v[81:82]
	v_fma_f64 v[12:13], v[67:68], s[34:35], v[81:82]
	s_delay_alu instid0(VALU_DEP_2) | instskip(SKIP_1) | instid1(VALU_DEP_3)
	v_add_f64 v[2:3], v[85:86], v[2:3]
	v_mul_f64 v[85:86], v[109:110], s[40:41]
	v_add_f64 v[8:9], v[12:13], v[8:9]
	s_delay_alu instid0(VALU_DEP_2) | instskip(SKIP_1) | instid1(VALU_DEP_2)
	v_fma_f64 v[87:88], v[69:70], s[30:31], -v[85:86]
	v_fma_f64 v[14:15], v[69:70], s[30:31], v[85:86]
	v_add_f64 v[0:1], v[87:88], v[0:1]
	v_mul_f64 v[87:88], v[111:112], s[24:25]
	s_delay_alu instid0(VALU_DEP_3) | instskip(NEXT) | instid1(VALU_DEP_2)
	v_add_f64 v[10:11], v[14:15], v[10:11]
	v_fma_f64 v[89:90], v[71:72], s[38:39], v[87:88]
	v_fma_f64 v[16:17], v[71:72], s[26:27], v[87:88]
	s_delay_alu instid0(VALU_DEP_2) | instskip(SKIP_1) | instid1(VALU_DEP_3)
	v_add_f64 v[2:3], v[89:90], v[2:3]
	v_mul_f64 v[89:90], v[115:116], s[38:39]
	v_add_f64 v[8:9], v[16:17], v[8:9]
	s_delay_alu instid0(VALU_DEP_2) | instskip(SKIP_1) | instid1(VALU_DEP_2)
	v_fma_f64 v[91:92], v[73:74], s[24:25], -v[89:90]
	v_fma_f64 v[18:19], v[73:74], s[24:25], v[89:90]
	v_add_f64 v[0:1], v[91:92], v[0:1]
	v_mul_f64 v[91:92], v[119:120], s[16:17]
	s_delay_alu instid0(VALU_DEP_3) | instskip(SKIP_1) | instid1(VALU_DEP_3)
	v_add_f64 v[10:11], v[18:19], v[10:11]
	v_fma_f64 v[18:19], v[83:84], s[0:1], v[105:106]
	v_fma_f64 v[101:102], v[75:76], s[28:29], v[91:92]
	;; [unrolled: 1-line block ×3, first 2 shown]
	s_delay_alu instid0(VALU_DEP_2) | instskip(SKIP_1) | instid1(VALU_DEP_3)
	v_add_f64 v[2:3], v[101:102], v[2:3]
	v_mul_f64 v[101:102], v[123:124], s[28:29]
	v_add_f64 v[8:9], v[12:13], v[8:9]
	s_delay_alu instid0(VALU_DEP_2) | instskip(SKIP_1) | instid1(VALU_DEP_2)
	v_fma_f64 v[103:104], v[77:78], s[16:17], -v[101:102]
	v_fma_f64 v[14:15], v[77:78], s[16:17], v[101:102]
	v_add_f64 v[0:1], v[103:104], v[0:1]
	v_mul_f64 v[103:104], v[127:128], s[0:1]
	s_delay_alu instid0(VALU_DEP_3) | instskip(NEXT) | instid1(VALU_DEP_2)
	v_add_f64 v[12:13], v[14:15], v[10:11]
	v_fma_f64 v[107:108], v[79:80], s[14:15], v[103:104]
	v_fma_f64 v[16:17], v[79:80], s[4:5], v[103:104]
	s_delay_alu instid0(VALU_DEP_2) | instskip(SKIP_1) | instid1(VALU_DEP_3)
	v_add_f64 v[2:3], v[107:108], v[2:3]
	v_fma_f64 v[107:108], v[83:84], s[0:1], -v[105:106]
	v_add_f64 v[10:11], v[16:17], v[8:9]
	v_add_f64 v[8:9], v[18:19], v[12:13]
	s_delay_alu instid0(VALU_DEP_3)
	v_add_f64 v[0:1], v[107:108], v[0:1]
	s_clause 0x4
	global_store_b128 v[56:57], v[97:100], off offset:3200
	global_store_b128 v[217:218], v[93:96], off offset:1216
	;; [unrolled: 1-line block ×3, first 2 shown]
	global_store_b128 v[56:57], v[4:7], off
	global_store_b128 v[217:218], v[8:11], off offset:2816
.LBB0_17:
	s_nop 0
	s_sendmsg sendmsg(MSG_DEALLOC_VGPRS)
	s_endpgm
	.section	.rodata,"a",@progbits
	.p2align	6, 0x0
	.amdhsa_kernel fft_rtc_fwd_len1300_factors_10_10_13_wgs_130_tpt_130_dp_op_CI_CI_unitstride_sbrr_dirReg
		.amdhsa_group_segment_fixed_size 0
		.amdhsa_private_segment_fixed_size 0
		.amdhsa_kernarg_size 104
		.amdhsa_user_sgpr_count 15
		.amdhsa_user_sgpr_dispatch_ptr 0
		.amdhsa_user_sgpr_queue_ptr 0
		.amdhsa_user_sgpr_kernarg_segment_ptr 1
		.amdhsa_user_sgpr_dispatch_id 0
		.amdhsa_user_sgpr_private_segment_size 0
		.amdhsa_wavefront_size32 1
		.amdhsa_uses_dynamic_stack 0
		.amdhsa_enable_private_segment 0
		.amdhsa_system_sgpr_workgroup_id_x 1
		.amdhsa_system_sgpr_workgroup_id_y 0
		.amdhsa_system_sgpr_workgroup_id_z 0
		.amdhsa_system_sgpr_workgroup_info 0
		.amdhsa_system_vgpr_workitem_id 0
		.amdhsa_next_free_vgpr 219
		.amdhsa_next_free_sgpr 42
		.amdhsa_reserve_vcc 1
		.amdhsa_float_round_mode_32 0
		.amdhsa_float_round_mode_16_64 0
		.amdhsa_float_denorm_mode_32 3
		.amdhsa_float_denorm_mode_16_64 3
		.amdhsa_dx10_clamp 1
		.amdhsa_ieee_mode 1
		.amdhsa_fp16_overflow 0
		.amdhsa_workgroup_processor_mode 1
		.amdhsa_memory_ordered 1
		.amdhsa_forward_progress 0
		.amdhsa_shared_vgpr_count 0
		.amdhsa_exception_fp_ieee_invalid_op 0
		.amdhsa_exception_fp_denorm_src 0
		.amdhsa_exception_fp_ieee_div_zero 0
		.amdhsa_exception_fp_ieee_overflow 0
		.amdhsa_exception_fp_ieee_underflow 0
		.amdhsa_exception_fp_ieee_inexact 0
		.amdhsa_exception_int_div_zero 0
	.end_amdhsa_kernel
	.text
.Lfunc_end0:
	.size	fft_rtc_fwd_len1300_factors_10_10_13_wgs_130_tpt_130_dp_op_CI_CI_unitstride_sbrr_dirReg, .Lfunc_end0-fft_rtc_fwd_len1300_factors_10_10_13_wgs_130_tpt_130_dp_op_CI_CI_unitstride_sbrr_dirReg
                                        ; -- End function
	.section	.AMDGPU.csdata,"",@progbits
; Kernel info:
; codeLenInByte = 9968
; NumSgprs: 44
; NumVgprs: 219
; ScratchSize: 0
; MemoryBound: 1
; FloatMode: 240
; IeeeMode: 1
; LDSByteSize: 0 bytes/workgroup (compile time only)
; SGPRBlocks: 5
; VGPRBlocks: 27
; NumSGPRsForWavesPerEU: 44
; NumVGPRsForWavesPerEU: 219
; Occupancy: 6
; WaveLimiterHint : 1
; COMPUTE_PGM_RSRC2:SCRATCH_EN: 0
; COMPUTE_PGM_RSRC2:USER_SGPR: 15
; COMPUTE_PGM_RSRC2:TRAP_HANDLER: 0
; COMPUTE_PGM_RSRC2:TGID_X_EN: 1
; COMPUTE_PGM_RSRC2:TGID_Y_EN: 0
; COMPUTE_PGM_RSRC2:TGID_Z_EN: 0
; COMPUTE_PGM_RSRC2:TIDIG_COMP_CNT: 0
	.text
	.p2alignl 7, 3214868480
	.fill 96, 4, 3214868480
	.type	__hip_cuid_9b988b188a2c3b54,@object ; @__hip_cuid_9b988b188a2c3b54
	.section	.bss,"aw",@nobits
	.globl	__hip_cuid_9b988b188a2c3b54
__hip_cuid_9b988b188a2c3b54:
	.byte	0                               ; 0x0
	.size	__hip_cuid_9b988b188a2c3b54, 1

	.ident	"AMD clang version 19.0.0git (https://github.com/RadeonOpenCompute/llvm-project roc-6.4.0 25133 c7fe45cf4b819c5991fe208aaa96edf142730f1d)"
	.section	".note.GNU-stack","",@progbits
	.addrsig
	.addrsig_sym __hip_cuid_9b988b188a2c3b54
	.amdgpu_metadata
---
amdhsa.kernels:
  - .args:
      - .actual_access:  read_only
        .address_space:  global
        .offset:         0
        .size:           8
        .value_kind:     global_buffer
      - .offset:         8
        .size:           8
        .value_kind:     by_value
      - .actual_access:  read_only
        .address_space:  global
        .offset:         16
        .size:           8
        .value_kind:     global_buffer
      - .actual_access:  read_only
        .address_space:  global
        .offset:         24
        .size:           8
        .value_kind:     global_buffer
      - .actual_access:  read_only
        .address_space:  global
        .offset:         32
        .size:           8
        .value_kind:     global_buffer
      - .offset:         40
        .size:           8
        .value_kind:     by_value
      - .actual_access:  read_only
        .address_space:  global
        .offset:         48
        .size:           8
        .value_kind:     global_buffer
      - .actual_access:  read_only
        .address_space:  global
        .offset:         56
        .size:           8
        .value_kind:     global_buffer
      - .offset:         64
        .size:           4
        .value_kind:     by_value
      - .actual_access:  read_only
        .address_space:  global
        .offset:         72
        .size:           8
        .value_kind:     global_buffer
      - .actual_access:  read_only
        .address_space:  global
        .offset:         80
        .size:           8
        .value_kind:     global_buffer
      - .actual_access:  read_only
        .address_space:  global
        .offset:         88
        .size:           8
        .value_kind:     global_buffer
      - .actual_access:  write_only
        .address_space:  global
        .offset:         96
        .size:           8
        .value_kind:     global_buffer
    .group_segment_fixed_size: 0
    .kernarg_segment_align: 8
    .kernarg_segment_size: 104
    .language:       OpenCL C
    .language_version:
      - 2
      - 0
    .max_flat_workgroup_size: 130
    .name:           fft_rtc_fwd_len1300_factors_10_10_13_wgs_130_tpt_130_dp_op_CI_CI_unitstride_sbrr_dirReg
    .private_segment_fixed_size: 0
    .sgpr_count:     44
    .sgpr_spill_count: 0
    .symbol:         fft_rtc_fwd_len1300_factors_10_10_13_wgs_130_tpt_130_dp_op_CI_CI_unitstride_sbrr_dirReg.kd
    .uniform_work_group_size: 1
    .uses_dynamic_stack: false
    .vgpr_count:     219
    .vgpr_spill_count: 0
    .wavefront_size: 32
    .workgroup_processor_mode: 1
amdhsa.target:   amdgcn-amd-amdhsa--gfx1100
amdhsa.version:
  - 1
  - 2
...

	.end_amdgpu_metadata
